;; amdgpu-corpus repo=ROCm/rocFFT kind=compiled arch=gfx1030 opt=O3
	.text
	.amdgcn_target "amdgcn-amd-amdhsa--gfx1030"
	.amdhsa_code_object_version 6
	.protected	fft_rtc_back_len104_factors_13_8_wgs_64_tpt_8_halfLds_dp_ip_CI_sbrr_dirReg ; -- Begin function fft_rtc_back_len104_factors_13_8_wgs_64_tpt_8_halfLds_dp_ip_CI_sbrr_dirReg
	.globl	fft_rtc_back_len104_factors_13_8_wgs_64_tpt_8_halfLds_dp_ip_CI_sbrr_dirReg
	.p2align	8
	.type	fft_rtc_back_len104_factors_13_8_wgs_64_tpt_8_halfLds_dp_ip_CI_sbrr_dirReg,@function
fft_rtc_back_len104_factors_13_8_wgs_64_tpt_8_halfLds_dp_ip_CI_sbrr_dirReg: ; @fft_rtc_back_len104_factors_13_8_wgs_64_tpt_8_halfLds_dp_ip_CI_sbrr_dirReg
; %bb.0:
	s_clause 0x2
	s_load_dwordx2 s[14:15], s[4:5], 0x18
	s_load_dwordx4 s[8:11], s[4:5], 0x0
	s_load_dwordx2 s[12:13], s[4:5], 0x50
	v_lshrrev_b32_e32 v38, 3, v0
	v_mov_b32_e32 v3, 0
	v_mov_b32_e32 v1, 0
	;; [unrolled: 1-line block ×3, first 2 shown]
	v_lshl_or_b32 v5, s6, 3, v38
	v_mov_b32_e32 v6, v3
	s_waitcnt lgkmcnt(0)
	s_load_dwordx2 s[2:3], s[14:15], 0x0
	v_cmp_lt_u64_e64 s0, s[10:11], 2
	s_and_b32 vcc_lo, exec_lo, s0
	s_cbranch_vccnz .LBB0_8
; %bb.1:
	s_load_dwordx2 s[0:1], s[4:5], 0x10
	v_mov_b32_e32 v1, 0
	s_add_u32 s6, s14, 8
	v_mov_b32_e32 v2, 0
	s_addc_u32 s7, s15, 0
	s_mov_b64 s[18:19], 1
	s_waitcnt lgkmcnt(0)
	s_add_u32 s16, s0, 8
	s_addc_u32 s17, s1, 0
.LBB0_2:                                ; =>This Inner Loop Header: Depth=1
	s_load_dwordx2 s[20:21], s[16:17], 0x0
                                        ; implicit-def: $vgpr7_vgpr8
	s_mov_b32 s0, exec_lo
	s_waitcnt lgkmcnt(0)
	v_or_b32_e32 v4, s21, v6
	v_cmpx_ne_u64_e32 0, v[3:4]
	s_xor_b32 s1, exec_lo, s0
	s_cbranch_execz .LBB0_4
; %bb.3:                                ;   in Loop: Header=BB0_2 Depth=1
	v_cvt_f32_u32_e32 v4, s20
	v_cvt_f32_u32_e32 v7, s21
	s_sub_u32 s0, 0, s20
	s_subb_u32 s22, 0, s21
	v_fmac_f32_e32 v4, 0x4f800000, v7
	v_rcp_f32_e32 v4, v4
	v_mul_f32_e32 v4, 0x5f7ffffc, v4
	v_mul_f32_e32 v7, 0x2f800000, v4
	v_trunc_f32_e32 v7, v7
	v_fmac_f32_e32 v4, 0xcf800000, v7
	v_cvt_u32_f32_e32 v7, v7
	v_cvt_u32_f32_e32 v4, v4
	v_mul_lo_u32 v8, s0, v7
	v_mul_hi_u32 v9, s0, v4
	v_mul_lo_u32 v10, s22, v4
	v_add_nc_u32_e32 v8, v9, v8
	v_mul_lo_u32 v9, s0, v4
	v_add_nc_u32_e32 v8, v8, v10
	v_mul_hi_u32 v10, v4, v9
	v_mul_lo_u32 v11, v4, v8
	v_mul_hi_u32 v12, v4, v8
	v_mul_hi_u32 v13, v7, v9
	v_mul_lo_u32 v9, v7, v9
	v_mul_hi_u32 v14, v7, v8
	v_mul_lo_u32 v8, v7, v8
	v_add_co_u32 v10, vcc_lo, v10, v11
	v_add_co_ci_u32_e32 v11, vcc_lo, 0, v12, vcc_lo
	v_add_co_u32 v9, vcc_lo, v10, v9
	v_add_co_ci_u32_e32 v9, vcc_lo, v11, v13, vcc_lo
	v_add_co_ci_u32_e32 v10, vcc_lo, 0, v14, vcc_lo
	v_add_co_u32 v8, vcc_lo, v9, v8
	v_add_co_ci_u32_e32 v9, vcc_lo, 0, v10, vcc_lo
	v_add_co_u32 v4, vcc_lo, v4, v8
	v_add_co_ci_u32_e32 v7, vcc_lo, v7, v9, vcc_lo
	v_mul_hi_u32 v8, s0, v4
	v_mul_lo_u32 v10, s22, v4
	v_mul_lo_u32 v9, s0, v7
	v_add_nc_u32_e32 v8, v8, v9
	v_mul_lo_u32 v9, s0, v4
	v_add_nc_u32_e32 v8, v8, v10
	v_mul_hi_u32 v10, v4, v9
	v_mul_lo_u32 v11, v4, v8
	v_mul_hi_u32 v12, v4, v8
	v_mul_hi_u32 v13, v7, v9
	v_mul_lo_u32 v9, v7, v9
	v_mul_hi_u32 v14, v7, v8
	v_mul_lo_u32 v8, v7, v8
	v_add_co_u32 v10, vcc_lo, v10, v11
	v_add_co_ci_u32_e32 v11, vcc_lo, 0, v12, vcc_lo
	v_add_co_u32 v9, vcc_lo, v10, v9
	v_add_co_ci_u32_e32 v9, vcc_lo, v11, v13, vcc_lo
	v_add_co_ci_u32_e32 v10, vcc_lo, 0, v14, vcc_lo
	v_add_co_u32 v8, vcc_lo, v9, v8
	v_add_co_ci_u32_e32 v9, vcc_lo, 0, v10, vcc_lo
	v_add_co_u32 v4, vcc_lo, v4, v8
	v_add_co_ci_u32_e32 v11, vcc_lo, v7, v9, vcc_lo
	v_mul_hi_u32 v13, v5, v4
	v_mad_u64_u32 v[9:10], null, v6, v4, 0
	v_mad_u64_u32 v[7:8], null, v5, v11, 0
	;; [unrolled: 1-line block ×3, first 2 shown]
	v_add_co_u32 v4, vcc_lo, v13, v7
	v_add_co_ci_u32_e32 v7, vcc_lo, 0, v8, vcc_lo
	v_add_co_u32 v4, vcc_lo, v4, v9
	v_add_co_ci_u32_e32 v4, vcc_lo, v7, v10, vcc_lo
	v_add_co_ci_u32_e32 v7, vcc_lo, 0, v12, vcc_lo
	v_add_co_u32 v4, vcc_lo, v4, v11
	v_add_co_ci_u32_e32 v9, vcc_lo, 0, v7, vcc_lo
	v_mul_lo_u32 v10, s21, v4
	v_mad_u64_u32 v[7:8], null, s20, v4, 0
	v_mul_lo_u32 v11, s20, v9
	v_sub_co_u32 v7, vcc_lo, v5, v7
	v_add3_u32 v8, v8, v11, v10
	v_sub_nc_u32_e32 v10, v6, v8
	v_subrev_co_ci_u32_e64 v10, s0, s21, v10, vcc_lo
	v_add_co_u32 v11, s0, v4, 2
	v_add_co_ci_u32_e64 v12, s0, 0, v9, s0
	v_sub_co_u32 v13, s0, v7, s20
	v_sub_co_ci_u32_e32 v8, vcc_lo, v6, v8, vcc_lo
	v_subrev_co_ci_u32_e64 v10, s0, 0, v10, s0
	v_cmp_le_u32_e32 vcc_lo, s20, v13
	v_cmp_eq_u32_e64 s0, s21, v8
	v_cndmask_b32_e64 v13, 0, -1, vcc_lo
	v_cmp_le_u32_e32 vcc_lo, s21, v10
	v_cndmask_b32_e64 v14, 0, -1, vcc_lo
	v_cmp_le_u32_e32 vcc_lo, s20, v7
	;; [unrolled: 2-line block ×3, first 2 shown]
	v_cndmask_b32_e64 v15, 0, -1, vcc_lo
	v_cmp_eq_u32_e32 vcc_lo, s21, v10
	v_cndmask_b32_e64 v7, v15, v7, s0
	v_cndmask_b32_e32 v10, v14, v13, vcc_lo
	v_add_co_u32 v13, vcc_lo, v4, 1
	v_add_co_ci_u32_e32 v14, vcc_lo, 0, v9, vcc_lo
	v_cmp_ne_u32_e32 vcc_lo, 0, v10
	v_cndmask_b32_e32 v8, v14, v12, vcc_lo
	v_cndmask_b32_e32 v10, v13, v11, vcc_lo
	v_cmp_ne_u32_e32 vcc_lo, 0, v7
	v_cndmask_b32_e32 v8, v9, v8, vcc_lo
	v_cndmask_b32_e32 v7, v4, v10, vcc_lo
.LBB0_4:                                ;   in Loop: Header=BB0_2 Depth=1
	s_andn2_saveexec_b32 s0, s1
	s_cbranch_execz .LBB0_6
; %bb.5:                                ;   in Loop: Header=BB0_2 Depth=1
	v_cvt_f32_u32_e32 v4, s20
	s_sub_i32 s1, 0, s20
	v_rcp_iflag_f32_e32 v4, v4
	v_mul_f32_e32 v4, 0x4f7ffffe, v4
	v_cvt_u32_f32_e32 v4, v4
	v_mul_lo_u32 v7, s1, v4
	v_mul_hi_u32 v7, v4, v7
	v_add_nc_u32_e32 v4, v4, v7
	v_mul_hi_u32 v4, v5, v4
	v_mul_lo_u32 v7, v4, s20
	v_add_nc_u32_e32 v8, 1, v4
	v_sub_nc_u32_e32 v7, v5, v7
	v_subrev_nc_u32_e32 v9, s20, v7
	v_cmp_le_u32_e32 vcc_lo, s20, v7
	v_cndmask_b32_e32 v7, v7, v9, vcc_lo
	v_cndmask_b32_e32 v4, v4, v8, vcc_lo
	v_cmp_le_u32_e32 vcc_lo, s20, v7
	v_add_nc_u32_e32 v8, 1, v4
	v_cndmask_b32_e32 v7, v4, v8, vcc_lo
	v_mov_b32_e32 v8, v3
.LBB0_6:                                ;   in Loop: Header=BB0_2 Depth=1
	s_or_b32 exec_lo, exec_lo, s0
	s_load_dwordx2 s[0:1], s[6:7], 0x0
	v_mul_lo_u32 v4, v8, s20
	v_mul_lo_u32 v11, v7, s21
	v_mad_u64_u32 v[9:10], null, v7, s20, 0
	s_add_u32 s18, s18, 1
	s_addc_u32 s19, s19, 0
	s_add_u32 s6, s6, 8
	s_addc_u32 s7, s7, 0
	;; [unrolled: 2-line block ×3, first 2 shown]
	v_add3_u32 v4, v10, v11, v4
	v_sub_co_u32 v5, vcc_lo, v5, v9
	v_sub_co_ci_u32_e32 v4, vcc_lo, v6, v4, vcc_lo
	s_waitcnt lgkmcnt(0)
	v_mul_lo_u32 v6, s1, v5
	v_mul_lo_u32 v4, s0, v4
	v_mad_u64_u32 v[1:2], null, s0, v5, v[1:2]
	v_cmp_ge_u64_e64 s0, s[18:19], s[10:11]
	s_and_b32 vcc_lo, exec_lo, s0
	v_add3_u32 v2, v6, v2, v4
	s_cbranch_vccnz .LBB0_9
; %bb.7:                                ;   in Loop: Header=BB0_2 Depth=1
	v_mov_b32_e32 v5, v7
	v_mov_b32_e32 v6, v8
	s_branch .LBB0_2
.LBB0_8:
	v_mov_b32_e32 v8, v6
	v_mov_b32_e32 v7, v5
.LBB0_9:
	s_lshl_b64 s[0:1], s[10:11], 3
	v_and_b32_e32 v87, 7, v0
	s_add_u32 s0, s14, s0
	s_addc_u32 s1, s15, s1
                                        ; implicit-def: $vgpr88
	s_load_dwordx2 s[0:1], s[0:1], 0x0
	s_load_dwordx2 s[4:5], s[4:5], 0x20
	v_or_b32_e32 v86, 8, v87
	s_waitcnt lgkmcnt(0)
	v_mul_lo_u32 v3, s0, v8
	v_mul_lo_u32 v4, s1, v7
	v_mad_u64_u32 v[1:2], null, s0, v7, v[1:2]
	v_cmp_gt_u64_e32 vcc_lo, s[4:5], v[7:8]
	v_cmp_le_u64_e64 s0, s[4:5], v[7:8]
	v_add3_u32 v2, v4, v2, v3
	s_and_saveexec_b32 s1, s0
	s_xor_b32 s0, exec_lo, s1
; %bb.10:
	v_or_b32_e32 v88, 8, v87
; %bb.11:
	s_or_saveexec_b32 s1, s0
	v_lshlrev_b64 v[72:73], 4, v[1:2]
                                        ; implicit-def: $vgpr54_vgpr55
                                        ; implicit-def: $vgpr42_vgpr43
                                        ; implicit-def: $vgpr46_vgpr47
                                        ; implicit-def: $vgpr34_vgpr35
                                        ; implicit-def: $vgpr22_vgpr23
                                        ; implicit-def: $vgpr10_vgpr11
                                        ; implicit-def: $vgpr6_vgpr7
                                        ; implicit-def: $vgpr18_vgpr19
                                        ; implicit-def: $vgpr26_vgpr27
                                        ; implicit-def: $vgpr30_vgpr31
                                        ; implicit-def: $vgpr14_vgpr15
                                        ; implicit-def: $vgpr58_vgpr59
                                        ; implicit-def: $vgpr2_vgpr3
	s_xor_b32 exec_lo, exec_lo, s1
	s_cbranch_execz .LBB0_13
; %bb.12:
	v_mad_u64_u32 v[0:1], null, s2, v87, 0
	v_mad_u64_u32 v[2:3], null, s2, v86, 0
	v_or_b32_e32 v11, 16, v87
	v_or_b32_e32 v12, 24, v87
	v_add_co_u32 v25, s0, s12, v72
	v_or_b32_e32 v14, 32, v87
	v_add_co_ci_u32_e64 v26, s0, s13, v73, s0
	v_mad_u64_u32 v[4:5], null, s3, v87, v[1:2]
	v_mov_b32_e32 v1, v3
	v_mad_u64_u32 v[5:6], null, s2, v11, 0
	v_mad_u64_u32 v[7:8], null, s2, v12, 0
	;; [unrolled: 1-line block ×3, first 2 shown]
	v_mov_b32_e32 v1, v4
	v_or_b32_e32 v16, 40, v87
	v_mov_b32_e32 v4, v6
	v_or_b32_e32 v18, 48, v87
	v_mov_b32_e32 v6, v8
	v_lshlrev_b64 v[0:1], 4, v[0:1]
	v_mov_b32_e32 v3, v9
	v_mad_u64_u32 v[8:9], null, s3, v11, v[4:5]
	v_mad_u64_u32 v[11:12], null, s3, v12, v[6:7]
	v_lshlrev_b64 v[2:3], 4, v[2:3]
	v_add_co_u32 v0, s0, v25, v0
	v_mad_u64_u32 v[12:13], null, s2, v14, 0
	v_add_co_ci_u32_e64 v1, s0, v26, v1, s0
	v_add_co_u32 v9, s0, v25, v2
	v_mov_b32_e32 v6, v8
	v_mov_b32_e32 v8, v11
	v_add_co_ci_u32_e64 v10, s0, v26, v3, s0
	s_clause 0x1
	global_load_dwordx4 v[0:3], v[0:1], off
	global_load_dwordx4 v[52:55], v[9:10], off
	v_lshlrev_b64 v[4:5], 4, v[5:6]
	v_lshlrev_b64 v[7:8], 4, v[7:8]
	v_mov_b32_e32 v6, v13
	v_mad_u64_u32 v[9:10], null, s2, v16, 0
	v_or_b32_e32 v19, 56, v87
	v_add_co_u32 v4, s0, v25, v4
	v_mad_u64_u32 v[13:14], null, s3, v14, v[6:7]
	v_mad_u64_u32 v[14:15], null, s2, v18, 0
	v_add_co_ci_u32_e64 v5, s0, v26, v5, s0
	v_mov_b32_e32 v6, v10
	v_add_co_u32 v7, s0, v25, v7
	v_add_co_ci_u32_e64 v8, s0, v26, v8, s0
	s_clause 0x1
	global_load_dwordx4 v[56:59], v[4:5], off
	global_load_dwordx4 v[40:43], v[7:8], off
	v_mad_u64_u32 v[10:11], null, s3, v16, v[6:7]
	v_mad_u64_u32 v[16:17], null, s2, v19, 0
	v_mov_b32_e32 v6, v15
	v_lshlrev_b64 v[4:5], 4, v[12:13]
	v_or_b32_e32 v11, 64, v87
	v_or_b32_e32 v22, 0x48, v87
	v_lshlrev_b64 v[8:9], 4, v[9:10]
	v_mad_u64_u32 v[6:7], null, s3, v18, v[6:7]
	v_mov_b32_e32 v7, v17
	v_add_co_u32 v4, s0, v25, v4
	v_add_co_ci_u32_e64 v5, s0, v26, v5, s0
	v_or_b32_e32 v24, 0x50, v87
	v_mov_b32_e32 v15, v6
	v_mad_u64_u32 v[6:7], null, s3, v19, v[7:8]
	v_mad_u64_u32 v[18:19], null, s2, v11, 0
	v_add_co_u32 v7, s0, v25, v8
	v_add_co_ci_u32_e64 v8, s0, v26, v9, s0
	v_mov_b32_e32 v17, v6
	v_lshlrev_b64 v[9:10], 4, v[14:15]
	s_clause 0x1
	global_load_dwordx4 v[44:47], v[4:5], off
	global_load_dwordx4 v[12:15], v[7:8], off
	v_mov_b32_e32 v6, v19
	v_or_b32_e32 v27, 0x58, v87
	v_lshlrev_b64 v[7:8], 4, v[16:17]
	v_mad_u64_u32 v[16:17], null, s2, v24, 0
	v_add_co_u32 v4, s0, v25, v9
	v_add_co_ci_u32_e64 v5, s0, v26, v10, s0
	v_mad_u64_u32 v[9:10], null, s3, v11, v[6:7]
	v_mad_u64_u32 v[10:11], null, s2, v22, 0
	v_add_co_u32 v6, s0, v25, v7
	v_add_co_ci_u32_e64 v7, s0, v26, v8, s0
	v_mov_b32_e32 v19, v9
	v_mov_b32_e32 v9, v17
	;; [unrolled: 1-line block ×3, first 2 shown]
	v_mad_u64_u32 v[20:21], null, s2, v27, 0
	v_or_b32_e32 v36, 0x60, v87
	s_clause 0x1
	global_load_dwordx4 v[32:35], v[4:5], off
	global_load_dwordx4 v[28:31], v[6:7], off
	v_mad_u64_u32 v[22:23], null, s3, v22, v[8:9]
	v_mad_u64_u32 v[8:9], null, s3, v24, v[9:10]
	;; [unrolled: 1-line block ×3, first 2 shown]
	v_lshlrev_b64 v[5:6], 4, v[18:19]
	v_mov_b32_e32 v4, v21
	v_mov_b32_e32 v11, v22
	;; [unrolled: 1-line block ×4, first 2 shown]
	v_mad_u64_u32 v[7:8], null, s3, v27, v[4:5]
	v_mov_b32_e32 v4, v24
	v_add_co_u32 v5, s0, v25, v5
	v_lshlrev_b64 v[8:9], 4, v[10:11]
	v_lshlrev_b64 v[16:17], 4, v[16:17]
	v_add_co_ci_u32_e64 v6, s0, v26, v6, s0
	v_mad_u64_u32 v[10:11], null, s3, v36, v[4:5]
	v_mov_b32_e32 v21, v7
	v_add_co_u32 v7, s0, v25, v8
	v_add_co_ci_u32_e64 v8, s0, v26, v9, s0
	v_lshlrev_b64 v[18:19], 4, v[20:21]
	v_mov_b32_e32 v24, v10
	v_add_co_u32 v9, s0, v25, v16
	v_add_co_ci_u32_e64 v10, s0, v26, v17, s0
	v_lshlrev_b64 v[16:17], 4, v[23:24]
	v_add_co_u32 v36, s0, v25, v18
	v_add_co_ci_u32_e64 v37, s0, v26, v19, s0
	v_add_co_u32 v48, s0, v25, v16
	v_add_co_ci_u32_e64 v49, s0, v26, v17, s0
	s_clause 0x4
	global_load_dwordx4 v[24:27], v[5:6], off
	global_load_dwordx4 v[20:23], v[7:8], off
	;; [unrolled: 1-line block ×5, first 2 shown]
.LBB0_13:
	s_or_b32 exec_lo, exec_lo, s1
	s_waitcnt vmcnt(11)
	v_add_f64 v[50:51], v[52:53], v[0:1]
	s_waitcnt vmcnt(0)
	v_add_f64 v[48:49], v[54:55], -v[6:7]
	s_mov_b32 s34, 0x66966769
	s_mov_b32 s22, 0x2ef20147
	;; [unrolled: 1-line block ×6, first 2 shown]
	v_add_f64 v[36:37], v[52:53], v[4:5]
	v_add_f64 v[60:61], v[58:59], -v[10:11]
	s_mov_b32 s6, 0x42a4c3d2
	s_mov_b32 s7, 0xbfea55e2
	;; [unrolled: 1-line block ×12, first 2 shown]
	v_add_f64 v[50:51], v[56:57], v[50:51]
	v_mul_f64 v[66:67], v[48:49], s[34:35]
	v_mul_f64 v[82:83], v[48:49], s[22:23]
	v_mul_f64 v[99:100], v[48:49], s[26:27]
	v_mul_f64 v[64:65], v[48:49], s[6:7]
	s_mov_b32 s45, 0xbfddbe06
	s_mov_b32 s25, 0x3fefc445
	;; [unrolled: 1-line block ×4, first 2 shown]
	v_add_f64 v[62:63], v[8:9], v[56:57]
	v_add_f64 v[68:69], v[42:43], -v[18:19]
	v_mul_f64 v[80:81], v[60:61], s[28:29]
	v_mul_f64 v[125:126], v[48:49], s[28:29]
	;; [unrolled: 1-line block ×5, first 2 shown]
	s_mov_b32 s4, 0x1ea71119
	s_mov_b32 s5, 0x3fe22d96
	;; [unrolled: 1-line block ×6, first 2 shown]
	v_add_f64 v[50:51], v[40:41], v[50:51]
	v_fma_f64 v[89:90], v[36:37], s[10:11], v[66:67]
	v_fma_f64 v[111:112], v[36:37], s[14:15], v[82:83]
	;; [unrolled: 1-line block ×3, first 2 shown]
	s_mov_b32 s18, 0xe00740e9
	v_mul_f64 v[78:79], v[60:61], s[22:23]
	v_fma_f64 v[84:85], v[36:37], s[4:5], v[64:65]
	s_mov_b32 s40, s22
	s_mov_b32 s36, s44
	;; [unrolled: 1-line block ×3, first 2 shown]
	v_add_f64 v[70:71], v[40:41], v[16:17]
	v_mul_f64 v[103:104], v[68:69], s[40:41]
	v_fma_f64 v[109:110], v[62:63], s[20:21], v[80:81]
	v_mul_f64 v[139:140], v[60:61], s[36:37]
	v_fma_f64 v[149:150], v[36:37], s[20:21], v[125:126]
	v_fma_f64 v[125:126], v[36:37], s[20:21], -v[125:126]
	v_add_f64 v[74:75], v[46:47], -v[22:23]
	v_mul_f64 v[131:132], v[68:69], s[6:7]
	v_fma_f64 v[145:146], v[62:63], s[16:17], v[105:106]
	v_mul_f64 v[60:61], v[60:61], s[6:7]
	v_fma_f64 v[155:156], v[62:63], s[10:11], v[127:128]
	v_fma_f64 v[157:158], v[36:37], s[18:19], v[48:49]
	v_add_f64 v[50:51], v[44:45], v[50:51]
	v_add_f64 v[89:90], v[89:90], v[0:1]
	;; [unrolled: 1-line block ×4, first 2 shown]
	v_fma_f64 v[64:65], v[36:37], s[4:5], -v[64:65]
	v_fma_f64 v[82:83], v[36:37], s[14:15], -v[82:83]
	;; [unrolled: 1-line block ×5, first 2 shown]
	v_mul_f64 v[101:102], v[68:69], s[28:29]
	v_fma_f64 v[107:108], v[62:63], s[14:15], v[78:79]
	v_add_f64 v[84:85], v[84:85], v[0:1]
	s_mov_b32 s43, 0x3fcea1e5
	s_mov_b32 s42, s28
	v_mul_f64 v[129:130], v[68:69], s[36:37]
	v_fma_f64 v[143:144], v[70:71], s[14:15], v[103:104]
	v_fma_f64 v[167:168], v[62:63], s[18:19], v[139:140]
	v_add_f64 v[125:126], v[125:126], v[0:1]
	v_add_f64 v[76:77], v[44:45], v[20:21]
	v_mul_f64 v[137:138], v[74:75], s[42:43]
	v_fma_f64 v[165:166], v[70:71], s[4:5], v[131:132]
	v_fma_f64 v[78:79], v[62:63], s[14:15], -v[78:79]
	v_add_f64 v[50:51], v[12:13], v[50:51]
	v_add_f64 v[89:90], v[109:110], v[89:90]
	v_mul_f64 v[109:110], v[68:69], s[26:27]
	v_mul_f64 v[68:69], v[68:69], s[34:35]
	v_add_f64 v[111:112], v[145:146], v[111:112]
	v_fma_f64 v[145:146], v[62:63], s[4:5], v[60:61]
	v_add_f64 v[135:136], v[155:156], v[135:136]
	v_fma_f64 v[60:61], v[62:63], s[4:5], -v[60:61]
	v_fma_f64 v[80:81], v[62:63], s[20:21], -v[80:81]
	;; [unrolled: 1-line block ×3, first 2 shown]
	v_add_f64 v[64:65], v[64:65], v[0:1]
	v_add_f64 v[82:83], v[82:83], v[0:1]
	;; [unrolled: 1-line block ×4, first 2 shown]
	v_add_f64 v[91:92], v[14:15], -v[26:27]
	s_mov_b32 s31, 0x3fea55e2
	s_mov_b32 s30, s6
	v_mul_f64 v[113:114], v[74:75], s[38:39]
	v_mul_f64 v[115:116], v[74:75], s[36:37]
	v_fma_f64 v[141:142], v[70:71], s[20:21], v[101:102]
	v_add_f64 v[84:85], v[107:108], v[84:85]
	v_mul_f64 v[133:134], v[74:75], s[34:35]
	v_add_f64 v[48:49], v[32:33], v[50:51]
	v_fma_f64 v[50:51], v[62:63], s[18:19], -v[139:140]
	v_add_f64 v[139:140], v[149:150], v[0:1]
	v_add_f64 v[149:150], v[157:158], v[0:1]
	v_fma_f64 v[62:63], v[62:63], s[10:11], -v[127:128]
	v_add_f64 v[0:1], v[36:37], v[0:1]
	v_fma_f64 v[163:164], v[70:71], s[18:19], v[129:130]
	v_mul_f64 v[147:148], v[74:75], s[30:31]
	v_add_f64 v[89:90], v[143:144], v[89:90]
	v_fma_f64 v[143:144], v[70:71], s[16:17], v[109:110]
	v_mul_f64 v[74:75], v[74:75], s[22:23]
	v_fma_f64 v[127:128], v[76:77], s[20:21], v[137:138]
	v_add_f64 v[135:136], v[165:166], v[135:136]
	v_fma_f64 v[101:102], v[70:71], s[20:21], -v[101:102]
	v_fma_f64 v[103:104], v[70:71], s[14:15], -v[103:104]
	;; [unrolled: 1-line block ×3, first 2 shown]
	v_add_f64 v[64:65], v[78:79], v[64:65]
	v_add_f64 v[78:79], v[105:106], v[82:83]
	;; [unrolled: 1-line block ×4, first 2 shown]
	v_add_f64 v[95:96], v[34:35], -v[30:31]
	v_mul_f64 v[117:118], v[91:92], s[24:25]
	v_add_f64 v[36:37], v[28:29], v[48:49]
	v_fma_f64 v[48:49], v[70:71], s[16:17], -v[109:110]
	v_add_f64 v[109:110], v[167:168], v[139:140]
	v_add_f64 v[50:51], v[50:51], v[125:126]
	v_fma_f64 v[139:140], v[70:71], s[10:11], v[68:69]
	v_add_f64 v[145:146], v[145:146], v[149:150]
	v_fma_f64 v[68:69], v[70:71], s[10:11], -v[68:69]
	v_fma_f64 v[70:71], v[70:71], s[4:5], -v[131:132]
	v_add_f64 v[62:63], v[62:63], v[99:100]
	v_add_f64 v[0:1], v[60:61], v[0:1]
	v_mul_f64 v[119:120], v[91:92], s[6:7]
	v_fma_f64 v[151:152], v[76:77], s[16:17], v[113:114]
	v_fma_f64 v[153:154], v[76:77], s[18:19], v[115:116]
	v_add_f64 v[84:85], v[141:142], v[84:85]
	v_mul_f64 v[107:108], v[91:92], s[42:43]
	v_fma_f64 v[141:142], v[76:77], s[10:11], v[133:134]
	v_add_f64 v[111:112], v[163:164], v[111:112]
	v_mul_f64 v[60:61], v[91:92], s[36:37]
	v_fma_f64 v[82:83], v[76:77], s[4:5], -v[147:148]
	v_mul_f64 v[99:100], v[91:92], s[22:23]
	v_add_f64 v[105:106], v[127:128], v[135:136]
	v_fma_f64 v[127:128], v[76:77], s[14:15], v[74:75]
	v_add_f64 v[36:37], v[24:25], v[36:37]
	v_mul_f64 v[91:92], v[91:92], s[26:27]
	v_add_f64 v[80:81], v[143:144], v[109:110]
	v_add_f64 v[48:49], v[48:49], v[50:51]
	v_fma_f64 v[50:51], v[76:77], s[4:5], v[147:148]
	v_add_f64 v[109:110], v[139:140], v[145:146]
	v_fma_f64 v[74:75], v[76:77], s[14:15], -v[74:75]
	v_fma_f64 v[113:114], v[76:77], s[16:17], -v[113:114]
	;; [unrolled: 1-line block ×5, first 2 shown]
	v_add_f64 v[78:79], v[129:130], v[78:79]
	v_add_f64 v[62:63], v[70:71], v[62:63]
	;; [unrolled: 1-line block ×6, first 2 shown]
	v_mul_f64 v[121:122], v[95:96], s[36:37]
	v_mul_f64 v[123:124], v[95:96], s[26:27]
	v_fma_f64 v[159:160], v[93:94], s[10:11], v[117:118]
	v_fma_f64 v[161:162], v[93:94], s[4:5], v[119:120]
	v_add_f64 v[84:85], v[151:152], v[84:85]
	v_add_f64 v[36:37], v[20:21], v[36:37]
	;; [unrolled: 1-line block ×4, first 2 shown]
	v_fma_f64 v[131:132], v[93:94], s[20:21], v[107:108]
	v_fma_f64 v[68:69], v[93:94], s[18:19], v[60:61]
	v_mul_f64 v[70:71], v[95:96], s[30:31]
	v_mul_f64 v[101:102], v[95:96], s[22:23]
	v_add_f64 v[50:51], v[50:51], v[80:81]
	v_add_f64 v[48:49], v[82:83], v[48:49]
	v_fma_f64 v[80:81], v[93:94], s[14:15], v[99:100]
	v_fma_f64 v[82:83], v[93:94], s[14:15], -v[99:100]
	v_mul_f64 v[99:100], v[95:96], s[24:25]
	v_add_f64 v[103:104], v[127:128], v[109:110]
	v_fma_f64 v[109:110], v[93:94], s[16:17], v[91:92]
	v_mul_f64 v[95:96], v[95:96], s[28:29]
	v_fma_f64 v[107:108], v[93:94], s[20:21], -v[107:108]
	v_fma_f64 v[60:61], v[93:94], s[18:19], -v[60:61]
	v_add_f64 v[78:79], v[133:134], v[78:79]
	v_add_f64 v[62:63], v[76:77], v[62:63]
	v_fma_f64 v[117:118], v[93:94], s[10:11], -v[117:118]
	v_fma_f64 v[119:120], v[93:94], s[4:5], -v[119:120]
	v_add_f64 v[64:65], v[113:114], v[64:65]
	v_add_f64 v[66:67], v[115:116], v[66:67]
	v_fma_f64 v[91:92], v[93:94], s[16:17], -v[91:92]
	v_add_f64 v[0:1], v[74:75], v[0:1]
	v_add_f64 v[36:37], v[16:17], v[36:37]
	v_fma_f64 v[125:126], v[97:98], s[18:19], v[121:122]
	v_add_f64 v[84:85], v[159:160], v[84:85]
	v_add_f64 v[89:90], v[161:162], v[89:90]
	v_fma_f64 v[74:75], v[97:98], s[16:17], v[123:124]
	;; [unrolled: 3-line block ×3, first 2 shown]
	v_fma_f64 v[105:106], v[97:98], s[14:15], v[101:102]
	v_add_f64 v[50:51], v[80:81], v[50:51]
	v_add_f64 v[48:49], v[82:83], v[48:49]
	v_fma_f64 v[80:81], v[97:98], s[10:11], v[99:100]
	v_fma_f64 v[82:83], v[97:98], s[10:11], -v[99:100]
	v_add_f64 v[99:100], v[109:110], v[103:104]
	v_fma_f64 v[103:104], v[97:98], s[20:21], v[95:96]
	v_fma_f64 v[95:96], v[97:98], s[20:21], -v[95:96]
	v_fma_f64 v[109:110], v[97:98], s[18:19], -v[121:122]
	;; [unrolled: 1-line block ×5, first 2 shown]
	v_add_f64 v[78:79], v[107:108], v[78:79]
	v_add_f64 v[60:61], v[60:61], v[62:63]
	;; [unrolled: 1-line block ×8, first 2 shown]
	v_mul_u32_u24_e32 v107, 0x68, v38
	v_add_f64 v[92:93], v[93:94], v[76:77]
	v_add_f64 v[68:69], v[105:106], v[68:69]
	v_cmp_gt_u32_e64 s0, 5, v87
	v_add_f64 v[50:51], v[80:81], v[50:51]
	v_add_f64 v[48:49], v[82:83], v[48:49]
	;; [unrolled: 1-line block ×9, first 2 shown]
	v_lshl_add_u32 v60, v107, 3, 0
	v_mad_u32_u24 v90, 0x68, v87, v60
	v_lshl_add_u32 v91, v87, 3, v60
	ds_write2_b64 v90, v[84:85], v[101:102] offset0:2 offset1:3
	ds_write2_b64 v90, v[92:93], v[68:69] offset0:4 offset1:5
	;; [unrolled: 1-line block ×5, first 2 shown]
	ds_write_b64 v90, v[38:39] offset:96
	ds_write2_b64 v90, v[0:1], v[80:81] offset1:1
	v_mad_i32_i24 v89, 0xffffffa0, v87, v90
	s_waitcnt lgkmcnt(0)
	s_barrier
	buffer_gl0_inv
	ds_read_b64 v[82:83], v91
	ds_read_b64 v[84:85], v89 offset:728
	ds_read2_b64 v[64:67], v89 offset0:13 offset1:26
	ds_read2_b64 v[60:63], v89 offset0:39 offset1:52
	;; [unrolled: 1-line block ×3, first 2 shown]
	v_lshlrev_b32_e32 v92, 3, v107
	v_lshlrev_b32_e32 v93, 3, v88
                                        ; implicit-def: $vgpr80_vgpr81
                                        ; implicit-def: $vgpr50_vgpr51
	s_and_saveexec_b32 s1, s0
	s_cbranch_execz .LBB0_15
; %bb.14:
	v_add3_u32 v0, 0, v93, v92
	ds_read2_b64 v[76:79], v89 offset0:21 offset1:34
	ds_read2_b64 v[36:39], v89 offset0:47 offset1:60
	;; [unrolled: 1-line block ×3, first 2 shown]
	ds_read_b64 v[74:75], v0
	ds_read_b64 v[80:81], v89 offset:792
.LBB0_15:
	s_or_b32 exec_lo, exec_lo, s1
	v_add_f64 v[0:1], v[54:55], v[2:3]
	v_add_f64 v[4:5], v[52:53], -v[4:5]
	v_add_f64 v[8:9], v[56:57], -v[8:9]
	v_add_f64 v[52:53], v[54:55], v[6:7]
	v_add_f64 v[16:17], v[40:41], -v[16:17]
	v_add_f64 v[40:41], v[10:11], v[58:59]
	v_add_f64 v[54:55], v[42:43], v[18:19]
	v_add_f64 v[28:29], v[32:33], -v[28:29]
	v_add_f64 v[20:21], v[44:45], -v[20:21]
	v_add_f64 v[44:45], v[26:27], v[14:15]
	v_add_f64 v[12:13], v[12:13], -v[24:25]
	v_add_f64 v[24:25], v[34:35], v[30:31]
	v_add_f64 v[56:57], v[46:47], v[22:23]
	s_waitcnt lgkmcnt(0)
	s_barrier
	buffer_gl0_inv
	v_add_f64 v[0:1], v[58:59], v[0:1]
	v_mul_f64 v[32:33], v[4:5], s[44:45]
	v_mul_f64 v[58:59], v[4:5], s[34:35]
	;; [unrolled: 1-line block ×21, first 2 shown]
	v_add_f64 v[0:1], v[42:43], v[0:1]
	v_mul_f64 v[42:43], v[4:5], s[6:7]
	v_mul_f64 v[4:5], v[4:5], s[28:29]
	v_fma_f64 v[146:147], v[52:53], s[18:19], -v[32:33]
	v_fma_f64 v[150:151], v[52:53], s[10:11], -v[58:59]
	v_fma_f64 v[152:153], v[52:53], s[16:17], -v[96:97]
	v_fma_f64 v[96:97], v[52:53], s[16:17], v[96:97]
	v_fma_f64 v[58:59], v[52:53], s[10:11], v[58:59]
	;; [unrolled: 1-line block ×3, first 2 shown]
	v_fma_f64 v[156:157], v[40:41], s[14:15], -v[100:101]
	v_fma_f64 v[100:101], v[40:41], s[14:15], v[100:101]
	v_fma_f64 v[158:159], v[40:41], s[20:21], -v[102:103]
	v_fma_f64 v[102:103], v[40:41], s[20:21], v[102:103]
	;; [unrolled: 2-line block ×5, first 2 shown]
	v_fma_f64 v[166:167], v[54:55], s[20:21], -v[110:111]
	v_fma_f64 v[168:169], v[54:55], s[18:19], -v[114:115]
	v_fma_f64 v[114:115], v[54:55], s[18:19], v[114:115]
	v_add_f64 v[0:1], v[46:47], v[0:1]
	v_fma_f64 v[148:149], v[52:53], s[4:5], -v[42:43]
	v_fma_f64 v[42:43], v[52:53], s[4:5], v[42:43]
	v_fma_f64 v[154:155], v[52:53], s[20:21], -v[4:5]
	v_fma_f64 v[4:5], v[52:53], s[20:21], v[4:5]
	;; [unrolled: 2-line block ×4, first 2 shown]
	v_add_f64 v[96:97], v[96:97], v[2:3]
	v_add_f64 v[58:59], v[58:59], v[2:3]
	v_mul_f64 v[46:47], v[20:21], s[34:35]
	v_mul_f64 v[20:21], v[20:21], s[30:31]
	;; [unrolled: 1-line block ×6, first 2 shown]
	v_fma_f64 v[176:177], v[56:57], s[20:21], -v[124:125]
	v_mul_f64 v[12:13], v[12:13], s[22:23]
	v_mul_f64 v[136:137], v[28:29], s[28:29]
	;; [unrolled: 1-line block ×4, first 2 shown]
	v_add_f64 v[0:1], v[14:15], v[0:1]
	v_fma_f64 v[14:15], v[52:53], s[14:15], -v[94:95]
	v_fma_f64 v[94:95], v[52:53], s[14:15], v[94:95]
	v_fma_f64 v[52:53], v[40:41], s[4:5], -v[98:99]
	v_fma_f64 v[98:99], v[40:41], s[4:5], v[98:99]
	;; [unrolled: 2-line block ×3, first 2 shown]
	v_add_f64 v[42:43], v[42:43], v[2:3]
	v_add_f64 v[4:5], v[4:5], v[2:3]
	v_mul_f64 v[142:143], v[28:29], s[30:31]
	v_add_f64 v[58:59], v[58:59], v[102:103]
	v_fma_f64 v[174:175], v[56:57], s[10:11], -v[46:47]
	v_fma_f64 v[46:47], v[56:57], s[10:11], v[46:47]
	v_mul_f64 v[144:145], v[28:29], s[22:23]
	v_mul_f64 v[28:29], v[28:29], s[24:25]
	v_fma_f64 v[102:103], v[44:45], s[10:11], -v[128:129]
	v_add_f64 v[0:1], v[34:35], v[0:1]
	v_fma_f64 v[34:35], v[54:55], s[20:21], v[110:111]
	v_fma_f64 v[110:111], v[54:55], s[14:15], -v[112:113]
	v_fma_f64 v[112:113], v[54:55], s[14:15], v[112:113]
	v_add_f64 v[54:55], v[146:147], v[2:3]
	v_add_f64 v[146:147], v[148:149], v[2:3]
	;; [unrolled: 1-line block ×11, first 2 shown]
	v_fma_f64 v[32:33], v[56:57], s[14:15], v[118:119]
	v_fma_f64 v[154:155], v[56:57], s[18:19], -v[122:123]
	v_fma_f64 v[96:97], v[56:57], s[4:5], -v[20:21]
	v_fma_f64 v[20:21], v[56:57], s[4:5], v[20:21]
	v_fma_f64 v[122:123], v[56:57], s[18:19], v[122:123]
	;; [unrolled: 1-line block ×3, first 2 shown]
	v_add_f64 v[0:1], v[30:31], v[0:1]
	v_fma_f64 v[30:31], v[56:57], s[14:15], -v[118:119]
	v_fma_f64 v[118:119], v[56:57], s[16:17], -v[120:121]
	v_fma_f64 v[120:121], v[56:57], s[16:17], v[120:121]
	v_add_f64 v[52:53], v[54:55], v[52:53]
	v_add_f64 v[54:55], v[146:147], v[156:157]
	v_add_f64 v[100:101], v[148:149], v[158:159]
	v_add_f64 v[14:15], v[14:15], v[160:161]
	v_add_f64 v[94:95], v[94:95], v[104:105]
	v_add_f64 v[104:105], v[150:151], v[162:163]
	v_add_f64 v[146:147], v[152:153], v[164:165]
	v_add_f64 v[2:3], v[2:3], v[98:99]
	v_add_f64 v[34:35], v[34:35], v[42:43]
	v_add_f64 v[4:5], v[16:17], v[4:5]
	v_add_f64 v[8:9], v[116:117], v[8:9]
	v_add_f64 v[16:17], v[112:113], v[58:59]
	v_fma_f64 v[58:59], v[44:45], s[20:21], v[132:133]
	v_fma_f64 v[98:99], v[44:45], s[16:17], v[126:127]
	;; [unrolled: 1-line block ×3, first 2 shown]
	v_fma_f64 v[116:117], v[24:25], s[10:11], -v[28:29]
	v_add_f64 v[0:1], v[26:27], v[0:1]
	v_fma_f64 v[26:27], v[56:57], s[20:21], v[124:125]
	v_fma_f64 v[56:57], v[44:45], s[16:17], -v[126:127]
	v_fma_f64 v[124:125], v[44:45], s[4:5], -v[130:131]
	v_add_f64 v[40:41], v[40:41], v[52:53]
	v_add_f64 v[52:53], v[166:167], v[54:55]
	;; [unrolled: 1-line block ×9, first 2 shown]
	v_fma_f64 v[104:105], v[44:45], s[18:19], -v[134:135]
	v_fma_f64 v[110:111], v[44:45], s[14:15], -v[12:13]
	v_fma_f64 v[12:13], v[44:45], s[14:15], v[12:13]
	v_add_f64 v[4:5], v[20:21], v[4:5]
	v_fma_f64 v[108:109], v[44:45], s[18:19], v[134:135]
	v_fma_f64 v[126:127], v[44:45], s[4:5], v[130:131]
	v_add_f64 v[16:17], v[122:123], v[16:17]
	v_fma_f64 v[114:115], v[24:25], s[18:19], -v[138:139]
	v_fma_f64 v[20:21], v[24:25], s[16:17], -v[140:141]
	v_add_f64 v[0:1], v[22:23], v[0:1]
	v_fma_f64 v[22:23], v[44:45], s[20:21], -v[132:133]
	v_add_f64 v[8:9], v[26:27], v[8:9]
	;; [unrolled: 2-line block ×3, first 2 shown]
	v_add_f64 v[40:41], v[118:119], v[52:53]
	v_add_f64 v[42:43], v[154:155], v[42:43]
	;; [unrolled: 1-line block ×7, first 2 shown]
	v_fma_f64 v[26:27], v[24:25], s[16:17], v[140:141]
	v_fma_f64 v[32:33], v[24:25], s[4:5], -v[142:143]
	v_fma_f64 v[94:95], v[24:25], s[4:5], v[142:143]
	v_fma_f64 v[96:97], v[24:25], s[14:15], -v[144:145]
	v_fma_f64 v[100:101], v[24:25], s[14:15], v[144:145]
	v_add_f64 v[34:35], v[106:107], v[34:35]
	v_add_f64 v[4:5], v[12:13], v[4:5]
	;; [unrolled: 1-line block ×4, first 2 shown]
	v_fma_f64 v[18:19], v[24:25], s[18:19], v[138:139]
	v_fma_f64 v[24:25], v[24:25], s[10:11], v[28:29]
	v_add_f64 v[8:9], v[108:109], v[8:9]
	v_add_f64 v[28:29], v[56:57], v[30:31]
	;; [unrolled: 1-line block ×22, first 2 shown]
                                        ; implicit-def: $vgpr26_vgpr27
	v_add_f64 v[6:7], v[6:7], v[10:11]
	ds_write2_b64 v90, v[28:29], v[18:19] offset0:2 offset1:3
	ds_write2_b64 v90, v[14:15], v[30:31] offset0:4 offset1:5
	;; [unrolled: 1-line block ×5, first 2 shown]
	ds_write_b64 v90, v[2:3] offset:96
	ds_write2_b64 v90, v[6:7], v[16:17] offset1:1
	s_waitcnt lgkmcnt(0)
	s_barrier
	buffer_gl0_inv
	ds_read2_b64 v[8:11], v89 offset0:13 offset1:26
	ds_read2_b64 v[16:19], v89 offset0:39 offset1:52
	;; [unrolled: 1-line block ×3, first 2 shown]
	ds_read_b64 v[28:29], v91
	ds_read_b64 v[30:31], v89 offset:728
                                        ; implicit-def: $vgpr6_vgpr7
	s_and_saveexec_b32 s1, s0
	s_cbranch_execz .LBB0_17
; %bb.16:
	v_add3_u32 v20, 0, v93, v92
	ds_read2_b64 v[22:25], v89 offset0:21 offset1:34
	ds_read2_b64 v[0:3], v89 offset0:47 offset1:60
	;; [unrolled: 1-line block ×3, first 2 shown]
	ds_read_b64 v[20:21], v20
	ds_read_b64 v[26:27], v89 offset:792
.LBB0_17:
	s_or_b32 exec_lo, exec_lo, s1
	s_and_saveexec_b32 s0, vcc_lo
	s_cbranch_execz .LBB0_20
; %bb.18:
	v_mul_u32_u24_e32 v32, 7, v87
	s_mov_b32 s4, 0x667f3bcd
	s_mov_b32 s5, 0x3fe6a09e
	;; [unrolled: 1-line block ×4, first 2 shown]
	v_lshlrev_b32_e32 v93, 4, v32
	s_clause 0x6
	global_load_dwordx4 v[32:35], v93, s[8:9] offset:48
	global_load_dwordx4 v[40:43], v93, s[8:9] offset:16
	;; [unrolled: 1-line block ×3, first 2 shown]
	global_load_dwordx4 v[52:55], v93, s[8:9]
	global_load_dwordx4 v[56:59], v93, s[8:9] offset:64
	global_load_dwordx4 v[89:92], v93, s[8:9] offset:32
	;; [unrolled: 1-line block ×3, first 2 shown]
	s_waitcnt vmcnt(6)
	v_mul_f64 v[97:98], v[62:63], v[34:35]
	s_waitcnt vmcnt(5)
	v_mul_f64 v[99:100], v[66:67], v[40:41]
	s_waitcnt vmcnt(4)
	v_mul_f64 v[101:102], v[70:71], v[44:45]
	s_waitcnt vmcnt(3)
	v_mul_f64 v[103:104], v[64:65], v[54:55]
	s_waitcnt vmcnt(2)
	v_mul_f64 v[105:106], v[68:69], v[58:59]
	s_waitcnt vmcnt(1)
	v_mul_f64 v[107:108], v[60:61], v[89:90]
	s_waitcnt vmcnt(0)
	v_mul_f64 v[109:110], v[84:85], v[93:94]
	s_waitcnt lgkmcnt(4)
	v_mul_f64 v[54:55], v[8:9], v[54:55]
	s_waitcnt lgkmcnt(2)
	v_mul_f64 v[58:59], v[12:13], v[58:59]
	v_mul_f64 v[60:61], v[60:61], v[91:92]
	;; [unrolled: 1-line block ×6, first 2 shown]
	v_fma_f64 v[18:19], v[18:19], v[32:33], -v[97:98]
	v_fma_f64 v[42:43], v[10:11], v[42:43], v[99:100]
	v_fma_f64 v[46:47], v[14:15], v[46:47], v[101:102]
	v_fma_f64 v[97:98], v[8:9], v[52:53], -v[103:104]
	v_fma_f64 v[8:9], v[12:13], v[56:57], -v[105:106]
	v_fma_f64 v[12:13], v[16:17], v[91:92], v[107:108]
	s_waitcnt lgkmcnt(0)
	v_fma_f64 v[91:92], v[30:31], v[95:96], v[109:110]
	v_fma_f64 v[52:53], v[64:65], v[52:53], v[54:55]
	;; [unrolled: 1-line block ×3, first 2 shown]
	v_fma_f64 v[16:17], v[16:17], v[89:90], -v[60:61]
	v_fma_f64 v[30:31], v[30:31], v[93:94], -v[84:85]
	;; [unrolled: 1-line block ×4, first 2 shown]
	v_fma_f64 v[32:33], v[62:63], v[32:33], v[34:35]
	v_mad_u64_u32 v[34:35], null, s2, v87, 0
	v_add_nc_u32_e32 v85, 13, v87
	v_add_nc_u32_e32 v93, 26, v87
	;; [unrolled: 1-line block ×5, first 2 shown]
	v_mad_u64_u32 v[56:57], null, s2, v85, 0
	v_add_f64 v[18:19], v[28:29], -v[18:19]
	v_add_f64 v[40:41], v[42:43], -v[46:47]
	v_mad_u64_u32 v[58:59], null, s2, v93, 0
	v_add_f64 v[44:45], v[97:98], -v[8:9]
	v_add_f64 v[46:47], v[12:13], -v[91:92]
	;; [unrolled: 3-line block ×4, first 2 shown]
	v_add_nc_u32_e32 v99, 0x4e, v87
	v_add_nc_u32_e32 v106, 0x5b, v87
	v_add_co_u32 v8, vcc_lo, s12, v72
	v_add_co_ci_u32_e32 v9, vcc_lo, s13, v73, vcc_lo
	v_mad_u64_u32 v[72:73], null, s2, v106, 0
	v_fma_f64 v[28:29], v[28:29], 2.0, -v[18:19]
	v_add_f64 v[64:65], v[18:19], -v[40:41]
	v_cmp_gt_u32_e32 vcc_lo, 13, v86
	v_add_f64 v[66:67], v[44:45], -v[46:47]
	v_fma_f64 v[12:13], v[12:13], 2.0, -v[46:47]
	v_add_f64 v[68:69], v[54:55], v[30:31]
	v_fma_f64 v[16:17], v[16:17], 2.0, -v[30:31]
	v_fma_f64 v[30:31], v[42:43], 2.0, -v[40:41]
	;; [unrolled: 1-line block ×3, first 2 shown]
	v_add_f64 v[70:71], v[32:33], v[14:15]
	v_fma_f64 v[14:15], v[52:53], 2.0, -v[54:55]
	v_fma_f64 v[46:47], v[82:83], 2.0, -v[32:33]
	;; [unrolled: 1-line block ×3, first 2 shown]
	v_mad_u64_u32 v[82:83], null, s3, v87, v[35:36]
	v_mad_u64_u32 v[40:41], null, s2, v96, 0
	;; [unrolled: 1-line block ×3, first 2 shown]
	v_fma_f64 v[18:19], v[18:19], 2.0, -v[64:65]
	v_mov_b32_e32 v35, v57
	v_mov_b32_e32 v57, v59
	;; [unrolled: 1-line block ×3, first 2 shown]
	v_fma_f64 v[44:45], v[44:45], 2.0, -v[66:67]
	v_mov_b32_e32 v61, v63
	v_fma_f64 v[54:55], v[54:55], 2.0, -v[68:69]
	v_add_f64 v[89:90], v[28:29], -v[10:11]
	v_fma_f64 v[83:84], v[32:33], 2.0, -v[70:71]
	v_mov_b32_e32 v10, v73
	v_add_f64 v[91:92], v[46:47], -v[30:31]
	v_add_f64 v[32:33], v[52:53], -v[16:17]
	;; [unrolled: 1-line block ×3, first 2 shown]
	v_mad_u64_u32 v[11:12], null, s3, v85, v[35:36]
	v_mad_u64_u32 v[12:13], null, s3, v93, v[57:58]
	;; [unrolled: 1-line block ×5, first 2 shown]
	v_fma_f64 v[100:101], v[44:45], s[6:7], v[18:19]
	v_mad_u64_u32 v[95:96], null, s3, v99, v[43:44]
	v_fma_f64 v[96:97], v[66:67], s[4:5], v[64:65]
	v_fma_f64 v[98:99], v[68:69], s[4:5], v[70:71]
	v_mov_b32_e32 v35, v82
	v_fma_f64 v[104:105], v[28:29], 2.0, -v[89:90]
	v_fma_f64 v[102:103], v[54:55], s[6:7], v[83:84]
	v_mov_b32_e32 v61, v30
	v_mov_b32_e32 v57, v11
	v_fma_f64 v[28:29], v[52:53], 2.0, -v[32:33]
	v_fma_f64 v[52:53], v[46:47], 2.0, -v[91:92]
	;; [unrolled: 1-line block ×3, first 2 shown]
	v_mad_u64_u32 v[13:14], null, s3, v106, v[10:11]
	v_lshlrev_b64 v[106:107], 4, v[34:35]
	v_add_f64 v[14:15], v[91:92], v[32:33]
	v_add_f64 v[16:17], v[89:90], -v[16:17]
	v_mov_b32_e32 v59, v12
	v_lshlrev_b64 v[56:57], 4, v[56:57]
	v_mov_b32_e32 v43, v95
	v_mov_b32_e32 v73, v13
	v_fma_f64 v[30:31], v[54:55], s[6:7], v[100:101]
	v_lshlrev_b64 v[58:59], 4, v[58:59]
	v_mov_b32_e32 v41, v94
	v_fma_f64 v[12:13], v[68:69], s[6:7], v[96:97]
	v_fma_f64 v[10:11], v[66:67], s[4:5], v[98:99]
	v_lshlrev_b64 v[68:69], 4, v[72:73]
	v_add_co_u32 v72, s0, v8, v106
	v_add_co_ci_u32_e64 v73, s0, v9, v107, s0
	v_add_f64 v[34:35], v[104:105], -v[28:29]
	v_fma_f64 v[28:29], v[44:45], s[4:5], v[102:103]
	v_add_f64 v[32:33], v[52:53], -v[46:47]
	v_add_co_u32 v95, s0, v8, v56
	v_add_co_ci_u32_e64 v96, s0, v9, v57, s0
	v_add_co_u32 v97, s0, v8, v58
	v_mov_b32_e32 v63, v93
	v_add_co_ci_u32_e64 v98, s0, v9, v59, s0
	v_fma_f64 v[54:55], v[18:19], 2.0, -v[30:31]
	v_lshlrev_b64 v[60:61], 4, v[60:61]
	v_fma_f64 v[46:47], v[89:90], 2.0, -v[16:17]
	v_fma_f64 v[44:45], v[91:92], 2.0, -v[14:15]
	v_lshlrev_b64 v[93:94], 4, v[40:41]
	v_lshlrev_b64 v[66:67], 4, v[42:43]
	v_fma_f64 v[42:43], v[64:65], 2.0, -v[12:13]
	v_fma_f64 v[40:41], v[70:71], 2.0, -v[10:11]
	v_lshlrev_b64 v[62:63], 4, v[62:63]
	v_add_co_u32 v18, s0, v8, v60
	v_fma_f64 v[58:59], v[104:105], 2.0, -v[34:35]
	v_fma_f64 v[56:57], v[52:53], 2.0, -v[32:33]
	;; [unrolled: 1-line block ×3, first 2 shown]
	v_add_co_ci_u32_e64 v19, s0, v9, v61, s0
	v_add_co_u32 v60, s0, v8, v62
	v_add_co_ci_u32_e64 v61, s0, v9, v63, s0
	v_add_co_u32 v62, s0, v8, v93
	v_add_co_ci_u32_e64 v63, s0, v9, v94, s0
	v_add_co_u32 v64, s0, v8, v66
	v_add_co_ci_u32_e64 v65, s0, v9, v67, s0
	v_add_co_u32 v66, s0, v8, v68
	v_add_co_ci_u32_e64 v67, s0, v9, v69, s0
	global_store_dwordx4 v[72:73], v[56:59], off
	global_store_dwordx4 v[95:96], v[52:55], off
	;; [unrolled: 1-line block ×8, first 2 shown]
	s_and_b32 exec_lo, exec_lo, vcc_lo
	s_cbranch_execz .LBB0_20
; %bb.19:
	v_add_nc_u32_e32 v10, -5, v87
	v_cmp_gt_u32_e32 vcc_lo, 13, v88
	v_mov_b32_e32 v11, 0
	v_add_nc_u32_e32 v72, 0x63, v87
	v_cndmask_b32_e32 v10, v10, v88, vcc_lo
	v_mul_i32_i24_e32 v10, 7, v10
	v_lshlrev_b64 v[10:11], 4, v[10:11]
	v_add_co_u32 v18, vcc_lo, s8, v10
	v_add_co_ci_u32_e32 v19, vcc_lo, s9, v11, vcc_lo
	s_clause 0x6
	global_load_dwordx4 v[10:13], v[18:19], off
	global_load_dwordx4 v[14:17], v[18:19], off offset:16
	global_load_dwordx4 v[28:31], v[18:19], off offset:32
	;; [unrolled: 1-line block ×6, first 2 shown]
	s_waitcnt vmcnt(6)
	v_mul_f64 v[18:19], v[22:23], v[12:13]
	v_mul_f64 v[12:13], v[76:77], v[12:13]
	s_waitcnt vmcnt(5)
	v_mul_f64 v[56:57], v[24:25], v[16:17]
	v_mul_f64 v[16:17], v[78:79], v[16:17]
	s_waitcnt vmcnt(4)
	v_mul_f64 v[58:59], v[0:1], v[30:31]
	s_waitcnt vmcnt(3)
	v_mul_f64 v[60:61], v[2:3], v[34:35]
	v_mul_f64 v[34:35], v[38:39], v[34:35]
	s_waitcnt vmcnt(2)
	v_mul_f64 v[62:63], v[6:7], v[42:43]
	;; [unrolled: 3-line block ×4, first 2 shown]
	v_mul_f64 v[30:31], v[36:37], v[30:31]
	v_mul_f64 v[54:55], v[80:81], v[54:55]
	v_fma_f64 v[18:19], v[76:77], v[10:11], v[18:19]
	v_fma_f64 v[10:11], v[22:23], v[10:11], -v[12:13]
	v_fma_f64 v[12:13], v[78:79], v[14:15], v[56:57]
	v_fma_f64 v[14:15], v[24:25], v[14:15], -v[16:17]
	v_fma_f64 v[16:17], v[36:37], v[28:29], v[58:59]
	v_fma_f64 v[22:23], v[38:39], v[32:33], v[60:61]
	v_fma_f64 v[2:3], v[2:3], v[32:33], -v[34:35]
	v_fma_f64 v[24:25], v[50:51], v[40:41], v[62:63]
	v_fma_f64 v[6:7], v[6:7], v[40:41], -v[42:43]
	;; [unrolled: 2-line block ×4, first 2 shown]
	v_fma_f64 v[26:27], v[26:27], v[52:53], -v[54:55]
	v_mad_u64_u32 v[28:29], null, s2, v86, 0
	v_add_nc_u32_e32 v59, 21, v87
	v_add_nc_u32_e32 v60, 34, v87
	;; [unrolled: 1-line block ×6, first 2 shown]
	v_mad_u64_u32 v[36:37], null, s2, v60, 0
	v_mad_u64_u32 v[38:39], null, s2, v61, 0
	;; [unrolled: 1-line block ×3, first 2 shown]
	v_add_f64 v[22:23], v[74:75], -v[22:23]
	v_add_f64 v[2:3], v[20:21], -v[2:3]
	;; [unrolled: 1-line block ×8, first 2 shown]
	v_mad_u64_u32 v[34:35], null, s2, v59, 0
	v_mad_u64_u32 v[46:47], null, s2, v64, 0
	;; [unrolled: 1-line block ×3, first 2 shown]
	v_fma_f64 v[42:43], v[74:75], 2.0, -v[22:23]
	v_fma_f64 v[20:21], v[20:21], 2.0, -v[2:3]
	;; [unrolled: 1-line block ×7, first 2 shown]
	v_add_f64 v[24:25], v[2:3], -v[24:25]
	v_fma_f64 v[0:1], v[0:1], 2.0, -v[26:27]
	v_add_f64 v[44:45], v[22:23], v[6:7]
	v_add_f64 v[6:7], v[30:31], v[26:27]
	v_add_f64 v[26:27], v[4:5], -v[32:33]
	v_mad_u64_u32 v[50:51], null, s3, v86, v[29:30]
	v_mad_u64_u32 v[32:33], null, s2, v63, 0
	v_mov_b32_e32 v29, v35
	v_mov_b32_e32 v35, v37
	;; [unrolled: 1-line block ×5, first 2 shown]
	v_add_f64 v[51:52], v[42:43], -v[12:13]
	v_add_f64 v[53:54], v[20:21], -v[14:15]
	v_mad_u64_u32 v[12:13], null, s3, v59, v[29:30]
	v_mov_b32_e32 v29, v50
	v_fma_f64 v[57:58], v[2:3], 2.0, -v[24:25]
	v_add_f64 v[2:3], v[18:19], -v[16:17]
	v_add_f64 v[0:1], v[10:11], -v[0:1]
	v_fma_f64 v[55:56], v[22:23], 2.0, -v[44:45]
	v_fma_f64 v[16:17], v[30:31], 2.0, -v[6:7]
	v_fma_f64 v[14:15], v[4:5], 2.0, -v[26:27]
	v_mad_u64_u32 v[22:23], null, s3, v60, v[35:36]
	v_mad_u64_u32 v[59:60], null, s3, v62, v[39:40]
	;; [unrolled: 1-line block ×5, first 2 shown]
	v_fma_f64 v[62:63], v[6:7], s[4:5], v[44:45]
	v_fma_f64 v[42:43], v[42:43], 2.0, -v[51:52]
	v_fma_f64 v[66:67], v[20:21], 2.0, -v[53:54]
	v_fma_f64 v[64:65], v[26:27], s[4:5], v[24:25]
	v_mov_b32_e32 v4, v49
	v_mov_b32_e32 v35, v12
	v_lshlrev_b64 v[28:29], 4, v[28:29]
	v_fma_f64 v[18:19], v[18:19], 2.0, -v[2:3]
	v_fma_f64 v[20:21], v[10:11], 2.0, -v[0:1]
	v_mad_u64_u32 v[4:5], null, s3, v72, v[4:5]
	v_fma_f64 v[68:69], v[16:17], s[6:7], v[55:56]
	v_fma_f64 v[70:71], v[14:15], s[6:7], v[57:58]
	v_add_f64 v[0:1], v[51:52], v[0:1]
	v_add_f64 v[2:3], v[53:54], -v[2:3]
	v_mov_b32_e32 v37, v22
	v_mov_b32_e32 v41, v59
	;; [unrolled: 1-line block ×4, first 2 shown]
	v_lshlrev_b64 v[22:23], 4, v[34:35]
	v_mov_b32_e32 v39, v30
	v_lshlrev_b64 v[30:31], 4, v[36:37]
	v_fma_f64 v[4:5], v[26:27], s[4:5], v[62:63]
	v_lshlrev_b64 v[36:37], 4, v[40:41]
	v_lshlrev_b64 v[40:41], 4, v[46:47]
	v_fma_f64 v[6:7], v[6:7], s[6:7], v[64:65]
	v_lshlrev_b64 v[46:47], 4, v[48:49]
	v_add_co_u32 v48, vcc_lo, v8, v28
	v_add_f64 v[10:11], v[42:43], -v[18:19]
	v_add_f64 v[12:13], v[66:67], -v[20:21]
	v_add_co_ci_u32_e32 v49, vcc_lo, v9, v29, vcc_lo
	v_fma_f64 v[14:15], v[14:15], s[4:5], v[68:69]
	v_fma_f64 v[16:17], v[16:17], s[6:7], v[70:71]
	v_mov_b32_e32 v33, v60
	v_add_co_u32 v59, vcc_lo, v8, v22
	v_add_co_ci_u32_e32 v60, vcc_lo, v9, v23, vcc_lo
	v_add_co_u32 v61, vcc_lo, v8, v30
	v_lshlrev_b64 v[34:35], 4, v[38:39]
	v_lshlrev_b64 v[38:39], 4, v[32:33]
	v_add_co_ci_u32_e32 v62, vcc_lo, v9, v31, vcc_lo
	v_fma_f64 v[18:19], v[51:52], 2.0, -v[0:1]
	v_fma_f64 v[20:21], v[53:54], 2.0, -v[2:3]
	;; [unrolled: 1-line block ×4, first 2 shown]
	v_add_co_u32 v34, vcc_lo, v8, v34
	v_fma_f64 v[26:27], v[42:43], 2.0, -v[10:11]
	v_fma_f64 v[28:29], v[66:67], 2.0, -v[12:13]
	v_add_co_ci_u32_e32 v35, vcc_lo, v9, v35, vcc_lo
	v_fma_f64 v[30:31], v[55:56], 2.0, -v[14:15]
	v_fma_f64 v[32:33], v[57:58], 2.0, -v[16:17]
	v_add_co_u32 v36, vcc_lo, v8, v36
	v_add_co_ci_u32_e32 v37, vcc_lo, v9, v37, vcc_lo
	v_add_co_u32 v38, vcc_lo, v8, v38
	v_add_co_ci_u32_e32 v39, vcc_lo, v9, v39, vcc_lo
	;; [unrolled: 2-line block ×4, first 2 shown]
	global_store_dwordx4 v[48:49], v[26:29], off
	global_store_dwordx4 v[59:60], v[30:33], off
	;; [unrolled: 1-line block ×8, first 2 shown]
.LBB0_20:
	s_endpgm
	.section	.rodata,"a",@progbits
	.p2align	6, 0x0
	.amdhsa_kernel fft_rtc_back_len104_factors_13_8_wgs_64_tpt_8_halfLds_dp_ip_CI_sbrr_dirReg
		.amdhsa_group_segment_fixed_size 0
		.amdhsa_private_segment_fixed_size 0
		.amdhsa_kernarg_size 88
		.amdhsa_user_sgpr_count 6
		.amdhsa_user_sgpr_private_segment_buffer 1
		.amdhsa_user_sgpr_dispatch_ptr 0
		.amdhsa_user_sgpr_queue_ptr 0
		.amdhsa_user_sgpr_kernarg_segment_ptr 1
		.amdhsa_user_sgpr_dispatch_id 0
		.amdhsa_user_sgpr_flat_scratch_init 0
		.amdhsa_user_sgpr_private_segment_size 0
		.amdhsa_wavefront_size32 1
		.amdhsa_uses_dynamic_stack 0
		.amdhsa_system_sgpr_private_segment_wavefront_offset 0
		.amdhsa_system_sgpr_workgroup_id_x 1
		.amdhsa_system_sgpr_workgroup_id_y 0
		.amdhsa_system_sgpr_workgroup_id_z 0
		.amdhsa_system_sgpr_workgroup_info 0
		.amdhsa_system_vgpr_workitem_id 0
		.amdhsa_next_free_vgpr 178
		.amdhsa_next_free_sgpr 46
		.amdhsa_reserve_vcc 1
		.amdhsa_reserve_flat_scratch 0
		.amdhsa_float_round_mode_32 0
		.amdhsa_float_round_mode_16_64 0
		.amdhsa_float_denorm_mode_32 3
		.amdhsa_float_denorm_mode_16_64 3
		.amdhsa_dx10_clamp 1
		.amdhsa_ieee_mode 1
		.amdhsa_fp16_overflow 0
		.amdhsa_workgroup_processor_mode 1
		.amdhsa_memory_ordered 1
		.amdhsa_forward_progress 0
		.amdhsa_shared_vgpr_count 0
		.amdhsa_exception_fp_ieee_invalid_op 0
		.amdhsa_exception_fp_denorm_src 0
		.amdhsa_exception_fp_ieee_div_zero 0
		.amdhsa_exception_fp_ieee_overflow 0
		.amdhsa_exception_fp_ieee_underflow 0
		.amdhsa_exception_fp_ieee_inexact 0
		.amdhsa_exception_int_div_zero 0
	.end_amdhsa_kernel
	.text
.Lfunc_end0:
	.size	fft_rtc_back_len104_factors_13_8_wgs_64_tpt_8_halfLds_dp_ip_CI_sbrr_dirReg, .Lfunc_end0-fft_rtc_back_len104_factors_13_8_wgs_64_tpt_8_halfLds_dp_ip_CI_sbrr_dirReg
                                        ; -- End function
	.section	.AMDGPU.csdata,"",@progbits
; Kernel info:
; codeLenInByte = 8444
; NumSgprs: 48
; NumVgprs: 178
; ScratchSize: 0
; MemoryBound: 1
; FloatMode: 240
; IeeeMode: 1
; LDSByteSize: 0 bytes/workgroup (compile time only)
; SGPRBlocks: 5
; VGPRBlocks: 22
; NumSGPRsForWavesPerEU: 48
; NumVGPRsForWavesPerEU: 178
; Occupancy: 5
; WaveLimiterHint : 1
; COMPUTE_PGM_RSRC2:SCRATCH_EN: 0
; COMPUTE_PGM_RSRC2:USER_SGPR: 6
; COMPUTE_PGM_RSRC2:TRAP_HANDLER: 0
; COMPUTE_PGM_RSRC2:TGID_X_EN: 1
; COMPUTE_PGM_RSRC2:TGID_Y_EN: 0
; COMPUTE_PGM_RSRC2:TGID_Z_EN: 0
; COMPUTE_PGM_RSRC2:TIDIG_COMP_CNT: 0
	.text
	.p2alignl 6, 3214868480
	.fill 48, 4, 3214868480
	.type	__hip_cuid_792443e9955d7283,@object ; @__hip_cuid_792443e9955d7283
	.section	.bss,"aw",@nobits
	.globl	__hip_cuid_792443e9955d7283
__hip_cuid_792443e9955d7283:
	.byte	0                               ; 0x0
	.size	__hip_cuid_792443e9955d7283, 1

	.ident	"AMD clang version 19.0.0git (https://github.com/RadeonOpenCompute/llvm-project roc-6.4.0 25133 c7fe45cf4b819c5991fe208aaa96edf142730f1d)"
	.section	".note.GNU-stack","",@progbits
	.addrsig
	.addrsig_sym __hip_cuid_792443e9955d7283
	.amdgpu_metadata
---
amdhsa.kernels:
  - .args:
      - .actual_access:  read_only
        .address_space:  global
        .offset:         0
        .size:           8
        .value_kind:     global_buffer
      - .offset:         8
        .size:           8
        .value_kind:     by_value
      - .actual_access:  read_only
        .address_space:  global
        .offset:         16
        .size:           8
        .value_kind:     global_buffer
      - .actual_access:  read_only
        .address_space:  global
        .offset:         24
        .size:           8
        .value_kind:     global_buffer
      - .offset:         32
        .size:           8
        .value_kind:     by_value
      - .actual_access:  read_only
        .address_space:  global
        .offset:         40
        .size:           8
        .value_kind:     global_buffer
      - .actual_access:  read_only
        .address_space:  global
        .offset:         48
        .size:           8
        .value_kind:     global_buffer
      - .offset:         56
        .size:           4
        .value_kind:     by_value
      - .actual_access:  read_only
        .address_space:  global
        .offset:         64
        .size:           8
        .value_kind:     global_buffer
      - .actual_access:  read_only
        .address_space:  global
        .offset:         72
        .size:           8
        .value_kind:     global_buffer
      - .address_space:  global
        .offset:         80
        .size:           8
        .value_kind:     global_buffer
    .group_segment_fixed_size: 0
    .kernarg_segment_align: 8
    .kernarg_segment_size: 88
    .language:       OpenCL C
    .language_version:
      - 2
      - 0
    .max_flat_workgroup_size: 64
    .name:           fft_rtc_back_len104_factors_13_8_wgs_64_tpt_8_halfLds_dp_ip_CI_sbrr_dirReg
    .private_segment_fixed_size: 0
    .sgpr_count:     48
    .sgpr_spill_count: 0
    .symbol:         fft_rtc_back_len104_factors_13_8_wgs_64_tpt_8_halfLds_dp_ip_CI_sbrr_dirReg.kd
    .uniform_work_group_size: 1
    .uses_dynamic_stack: false
    .vgpr_count:     178
    .vgpr_spill_count: 0
    .wavefront_size: 32
    .workgroup_processor_mode: 1
amdhsa.target:   amdgcn-amd-amdhsa--gfx1030
amdhsa.version:
  - 1
  - 2
...

	.end_amdgpu_metadata
